;; amdgpu-corpus repo=ROCm/rocFFT kind=compiled arch=gfx1201 opt=O3
	.text
	.amdgcn_target "amdgcn-amd-amdhsa--gfx1201"
	.amdhsa_code_object_version 6
	.protected	fft_rtc_back_len192_factors_2_2_3_4_4_wgs_192_tpt_12_dim3_sp_ip_CI_sbrr_dirReg ; -- Begin function fft_rtc_back_len192_factors_2_2_3_4_4_wgs_192_tpt_12_dim3_sp_ip_CI_sbrr_dirReg
	.globl	fft_rtc_back_len192_factors_2_2_3_4_4_wgs_192_tpt_12_dim3_sp_ip_CI_sbrr_dirReg
	.p2align	8
	.type	fft_rtc_back_len192_factors_2_2_3_4_4_wgs_192_tpt_12_dim3_sp_ip_CI_sbrr_dirReg,@function
fft_rtc_back_len192_factors_2_2_3_4_4_wgs_192_tpt_12_dim3_sp_ip_CI_sbrr_dirReg: ; @fft_rtc_back_len192_factors_2_2_3_4_4_wgs_192_tpt_12_dim3_sp_ip_CI_sbrr_dirReg
; %bb.0:
	s_load_b128 s[4:7], s[0:1], 0x8
	v_mul_u32_u24_e32 v1, 0x1556, v0
	v_mov_b32_e32 v4, 0
	s_mov_b32 s8, exec_lo
	s_delay_alu instid0(VALU_DEP_2) | instskip(SKIP_2) | instid1(VALU_DEP_3)
	v_lshrrev_b32_e32 v36, 16, v1
	v_mov_b32_e32 v1, 0
	v_mov_b32_e32 v2, 0
	v_lshl_add_u32 v3, ttmp9, 4, v36
	s_delay_alu instid0(VALU_DEP_2)
	v_dual_mov_b32 v6, v2 :: v_dual_mov_b32 v5, v1
	s_wait_kmcnt 0x0
	s_load_b64 s[2:3], s[4:5], 0x8
	s_wait_kmcnt 0x0
	v_cmpx_le_u64_e64 s[2:3], v[3:4]
	s_cbranch_execz .LBB0_2
; %bb.1:
	v_cvt_f32_u32_e32 v5, s2
	s_sub_co_i32 s9, 0, s2
	s_delay_alu instid0(VALU_DEP_1) | instskip(NEXT) | instid1(TRANS32_DEP_1)
	v_rcp_iflag_f32_e32 v5, v5
	v_mul_f32_e32 v5, 0x4f7ffffe, v5
	s_delay_alu instid0(VALU_DEP_1) | instskip(NEXT) | instid1(VALU_DEP_1)
	v_cvt_u32_f32_e32 v5, v5
	v_mul_lo_u32 v6, s9, v5
	s_delay_alu instid0(VALU_DEP_1) | instskip(NEXT) | instid1(VALU_DEP_1)
	v_mul_hi_u32 v6, v5, v6
	v_add_nc_u32_e32 v5, v5, v6
	s_delay_alu instid0(VALU_DEP_1) | instskip(NEXT) | instid1(VALU_DEP_1)
	v_mul_hi_u32 v5, v3, v5
	v_mul_lo_u32 v6, v5, s2
	v_add_nc_u32_e32 v7, 1, v5
	s_delay_alu instid0(VALU_DEP_2) | instskip(NEXT) | instid1(VALU_DEP_1)
	v_sub_nc_u32_e32 v6, v3, v6
	v_subrev_nc_u32_e32 v8, s2, v6
	v_cmp_le_u32_e32 vcc_lo, s2, v6
	s_delay_alu instid0(VALU_DEP_2) | instskip(NEXT) | instid1(VALU_DEP_1)
	v_dual_cndmask_b32 v6, v6, v8 :: v_dual_cndmask_b32 v5, v5, v7
	v_cmp_le_u32_e32 vcc_lo, s2, v6
	s_delay_alu instid0(VALU_DEP_2) | instskip(SKIP_1) | instid1(VALU_DEP_1)
	v_dual_mov_b32 v6, v4 :: v_dual_add_nc_u32 v7, 1, v5
	s_wait_alu 0xfffd
	v_cndmask_b32_e32 v5, v5, v7, vcc_lo
.LBB0_2:
	s_or_b32 exec_lo, exec_lo, s8
	s_load_b64 s[8:9], s[4:5], 0x10
	s_load_b64 s[4:5], s[6:7], 0x8
	s_mov_b32 s10, exec_lo
	s_wait_kmcnt 0x0
	v_cmpx_le_u64_e64 s[8:9], v[5:6]
	s_cbranch_execz .LBB0_4
; %bb.3:
	v_cvt_f32_u32_e32 v1, s8
	s_sub_co_i32 s11, 0, s8
	s_delay_alu instid0(VALU_DEP_1) | instskip(NEXT) | instid1(TRANS32_DEP_1)
	v_rcp_iflag_f32_e32 v1, v1
	v_mul_f32_e32 v1, 0x4f7ffffe, v1
	s_delay_alu instid0(VALU_DEP_1) | instskip(NEXT) | instid1(VALU_DEP_1)
	v_cvt_u32_f32_e32 v1, v1
	v_mul_lo_u32 v2, s11, v1
	s_delay_alu instid0(VALU_DEP_1) | instskip(NEXT) | instid1(VALU_DEP_1)
	v_mul_hi_u32 v2, v1, v2
	v_add_nc_u32_e32 v1, v1, v2
	s_delay_alu instid0(VALU_DEP_1) | instskip(NEXT) | instid1(VALU_DEP_1)
	v_mul_hi_u32 v1, v5, v1
	v_mul_lo_u32 v2, v1, s8
	v_add_nc_u32_e32 v4, 1, v1
	s_delay_alu instid0(VALU_DEP_2) | instskip(NEXT) | instid1(VALU_DEP_1)
	v_sub_nc_u32_e32 v2, v5, v2
	v_subrev_nc_u32_e32 v7, s8, v2
	v_cmp_le_u32_e32 vcc_lo, s8, v2
	s_wait_alu 0xfffd
	s_delay_alu instid0(VALU_DEP_2) | instskip(NEXT) | instid1(VALU_DEP_1)
	v_dual_cndmask_b32 v2, v2, v7 :: v_dual_cndmask_b32 v1, v1, v4
	v_cmp_le_u32_e32 vcc_lo, s8, v2
	v_mov_b32_e32 v2, 0
	s_delay_alu instid0(VALU_DEP_3) | instskip(SKIP_1) | instid1(VALU_DEP_1)
	v_add_nc_u32_e32 v4, 1, v1
	s_wait_alu 0xfffd
	v_cndmask_b32_e32 v1, v1, v4, vcc_lo
.LBB0_4:
	s_or_b32 exec_lo, exec_lo, s10
	v_mad_co_u64_u32 v[7:8], null, v5, s2, 0
	s_load_b128 s[12:15], s[6:7], 0x10
                                        ; implicit-def: $vgpr54
                                        ; implicit-def: $vgpr55
                                        ; implicit-def: $vgpr56
                                        ; implicit-def: $vgpr67
                                        ; implicit-def: $vgpr37
	s_delay_alu instid0(VALU_DEP_1) | instskip(SKIP_1) | instid1(VALU_DEP_3)
	v_mov_b32_e32 v4, v8
	v_mad_co_u64_u32 v[8:9], null, v1, s8, 0
	v_sub_co_u32 v7, vcc_lo, v3, v7
	s_delay_alu instid0(VALU_DEP_3) | instskip(SKIP_1) | instid1(VALU_DEP_2)
	v_mad_co_u64_u32 v[10:11], null, v5, s3, v[4:5]
	s_load_b64 s[2:3], s[6:7], 0x0
	v_mul_lo_u32 v11, s5, v7
	s_delay_alu instid0(VALU_DEP_2) | instskip(NEXT) | instid1(VALU_DEP_1)
	v_dual_mov_b32 v4, v9 :: v_dual_mov_b32 v9, v10
	v_mad_co_u64_u32 v[3:4], null, v1, s9, v[4:5]
	s_load_b64 s[8:9], s[0:1], 0x18
	s_delay_alu instid0(VALU_DEP_2) | instskip(SKIP_2) | instid1(VALU_DEP_3)
	v_sub_co_ci_u32_e32 v4, vcc_lo, 0, v9, vcc_lo
	v_mad_co_u64_u32 v[9:10], null, s4, v7, 0
	v_and_b32_e32 v7, 0xffff, v0
	v_mul_lo_u32 v4, s4, v4
	v_sub_co_u32 v5, vcc_lo, v5, v8
	s_wait_alu 0xfffd
	v_sub_co_ci_u32_e32 v3, vcc_lo, v6, v3, vcc_lo
	v_mul_u32_u24_e32 v6, 0x1556, v7
	s_wait_kmcnt 0x0
	v_mul_lo_u32 v7, s13, v5
	s_clause 0x1
	s_load_b64 s[4:5], s[0:1], 0x48
	s_load_b64 s[6:7], s[0:1], 0x0
	v_add3_u32 v10, v10, v4, v11
	v_mul_lo_u32 v8, s12, v3
	v_cmp_gt_u64_e32 vcc_lo, s[8:9], v[1:2]
	s_delay_alu instid0(VALU_DEP_3) | instskip(SKIP_2) | instid1(VALU_DEP_2)
	v_mad_co_u64_u32 v[3:4], null, s12, v5, v[9:10]
	v_lshrrev_b32_e32 v5, 16, v6
	v_cmp_le_u64_e64 s0, s[8:9], v[1:2]
                                        ; implicit-def: $sgpr8_sgpr9
	v_mul_lo_u16 v5, v5, 12
	s_delay_alu instid0(VALU_DEP_4) | instskip(NEXT) | instid1(VALU_DEP_2)
	v_add3_u32 v4, v7, v4, v8
	v_sub_nc_u16 v0, v0, v5
	s_delay_alu instid0(VALU_DEP_2) | instskip(NEXT) | instid1(VALU_DEP_2)
	v_mad_co_u64_u32 v[3:4], null, s14, v1, v[3:4]
	v_and_b32_e32 v44, 0xffff, v0
	s_delay_alu instid0(VALU_DEP_1) | instskip(SKIP_3) | instid1(VALU_DEP_4)
	v_dual_mov_b32 v0, v4 :: v_dual_add_nc_u32 v45, 12, v44
	v_add_nc_u32_e32 v47, 24, v44
	v_add_nc_u32_e32 v48, 36, v44
	v_or_b32_e32 v49, 48, v44
	v_mad_co_u64_u32 v[0:1], null, s15, v1, v[0:1]
	v_add_nc_u32_e32 v46, 60, v44
	v_add_nc_u32_e32 v34, 0x48, v44
	;; [unrolled: 1-line block ×3, first 2 shown]
	s_and_saveexec_b32 s1, s0
	s_wait_alu 0xfffe
	s_xor_b32 s0, exec_lo, s1
; %bb.5:
	v_add_nc_u32_e32 v54, 12, v44
	v_add_nc_u32_e32 v55, 24, v44
	;; [unrolled: 1-line block ×3, first 2 shown]
	v_or_b32_e32 v67, 48, v44
	v_add_nc_u32_e32 v37, 60, v44
	v_add_nc_u32_e32 v34, 0x48, v44
	;; [unrolled: 1-line block ×3, first 2 shown]
	s_mov_b64 s[8:9], 0
; %bb.6:
	s_wait_alu 0xfffe
	s_or_saveexec_b32 s1, s0
	v_mov_b32_e32 v4, v0
	v_dual_mov_b32 v8, s8 :: v_dual_mov_b32 v29, s9
	v_dual_mov_b32 v28, s8 :: v_dual_mov_b32 v21, s9
	v_dual_mov_b32 v0, s8 :: v_dual_add_nc_u32 v51, 0x9c, v44
	v_dual_mov_b32 v20, s8 :: v_dual_mov_b32 v19, s9
	v_mov_b32_e32 v1, s9
	v_lshlrev_b64_e32 v[24:25], 3, v[3:4]
	v_dual_mov_b32 v2, s8 :: v_dual_mov_b32 v11, s9
	v_dual_mov_b32 v18, s8 :: v_dual_mov_b32 v17, s9
	v_or_b32_e32 v52, 0x60, v44
	v_dual_mov_b32 v3, s9 :: v_dual_add_nc_u32 v50, 0x6c, v44
	v_or_b32_e32 v53, 0x90, v44
	v_dual_mov_b32 v10, s8 :: v_dual_mov_b32 v9, s9
	v_mov_b32_e32 v16, s8
                                        ; implicit-def: $vgpr5
                                        ; implicit-def: $vgpr13
                                        ; implicit-def: $vgpr33
                                        ; implicit-def: $vgpr27
                                        ; implicit-def: $vgpr23
                                        ; implicit-def: $vgpr31
                                        ; implicit-def: $vgpr15
                                        ; implicit-def: $vgpr7
	s_wait_alu 0xfffe
	s_xor_b32 exec_lo, exec_lo, s1
	s_cbranch_execz .LBB0_8
; %bb.7:
	v_mad_co_u64_u32 v[0:1], null, s2, v44, 0
	v_mad_co_u64_u32 v[2:3], null, s2, v52, 0
	;; [unrolled: 1-line block ×4, first 2 shown]
	v_add_nc_u32_e32 v21, 0x84, v44
	s_wait_kmcnt 0x0
	v_add_co_u32 v56, s0, s4, v24
	v_mad_co_u64_u32 v[8:9], null, s3, v44, v[1:2]
	s_delay_alu instid0(VALU_DEP_3) | instskip(SKIP_4) | instid1(VALU_DEP_4)
	v_mad_co_u64_u32 v[17:18], null, s2, v21, 0
	v_add_nc_u32_e32 v19, 0x78, v44
	v_mad_co_u64_u32 v[9:10], null, s3, v52, v[3:4]
	v_mad_co_u64_u32 v[10:11], null, s3, v45, v[5:6]
	;; [unrolled: 1-line block ×4, first 2 shown]
	v_mov_b32_e32 v5, v7
	v_mov_b32_e32 v1, v8
	;; [unrolled: 1-line block ×3, first 2 shown]
	v_mad_co_u64_u32 v[15:16], null, s2, v48, 0
	s_delay_alu instid0(VALU_DEP_4)
	v_mad_co_u64_u32 v[7:8], null, s3, v50, v[5:6]
	v_mov_b32_e32 v8, v12
	v_lshlrev_b64_e32 v[0:1], 3, v[0:1]
	v_mov_b32_e32 v5, v10
	s_wait_alu 0xf1ff
	v_add_co_ci_u32_e64 v57, s0, s5, v25, s0
	v_lshlrev_b64_e32 v[2:3], 3, v[2:3]
	v_mad_co_u64_u32 v[26:27], null, s2, v46, 0
	v_add_co_u32 v0, s0, v56, v0
	v_lshlrev_b64_e32 v[4:5], 3, v[4:5]
	s_wait_alu 0xf1ff
	v_add_co_ci_u32_e64 v1, s0, v57, v1, s0
	v_add_co_u32 v2, s0, v56, v2
	s_wait_alu 0xf1ff
	v_add_co_ci_u32_e64 v3, s0, v57, v3, s0
	v_add_co_u32 v9, s0, v56, v4
	s_wait_alu 0xf1ff
	v_add_co_ci_u32_e64 v10, s0, v57, v5, s0
	v_lshlrev_b64_e32 v[4:5], 3, v[6:7]
	s_delay_alu instid0(VALU_DEP_3) | instskip(SKIP_2) | instid1(VALU_DEP_4)
	v_mad_co_u64_u32 v[6:7], null, s3, v47, v[8:9]
	v_mad_co_u64_u32 v[37:38], null, s2, v35, 0
	v_add_nc_u32_e32 v39, 0xa8, v44
	v_add_co_u32 v7, s0, v56, v4
	v_mov_b32_e32 v4, v14
	v_mov_b32_e32 v14, v16
	;; [unrolled: 1-line block ×3, first 2 shown]
	s_wait_alu 0xf1ff
	v_add_co_ci_u32_e64 v8, s0, v57, v5, s0
	v_mad_co_u64_u32 v[19:20], null, s3, v19, v[4:5]
	s_clause 0x3
	global_load_b64 v[0:1], v[0:1], off
	global_load_b64 v[4:5], v[2:3], off
	;; [unrolled: 1-line block ×4, first 2 shown]
	v_lshlrev_b64_e32 v[9:10], 3, v[11:12]
	v_mov_b32_e32 v8, v18
	v_mad_co_u64_u32 v[11:12], null, s3, v48, v[14:15]
	v_mad_co_u64_u32 v[30:31], null, s2, v39, 0
	v_mov_b32_e32 v14, v19
	s_delay_alu instid0(VALU_DEP_4) | instskip(SKIP_2) | instid1(VALU_DEP_4)
	v_mad_co_u64_u32 v[20:21], null, s3, v21, v[8:9]
	v_add_co_u32 v8, s0, v56, v9
	v_mov_b32_e32 v16, v11
	v_lshlrev_b64_e32 v[12:13], 3, v[13:14]
	s_wait_alu 0xf1ff
	v_add_co_ci_u32_e64 v9, s0, v57, v10, s0
	v_mov_b32_e32 v18, v20
	v_mad_co_u64_u32 v[19:20], null, s2, v49, 0
	v_lshlrev_b64_e32 v[10:11], 3, v[15:16]
	v_add_co_u32 v12, s0, v56, v12
	s_delay_alu instid0(VALU_DEP_4)
	v_lshlrev_b64_e32 v[14:15], 3, v[17:18]
	s_wait_alu 0xf1ff
	v_add_co_ci_u32_e64 v13, s0, v57, v13, s0
	v_mov_b32_e32 v18, v20
	v_mad_co_u64_u32 v[16:17], null, s2, v53, 0
	v_add_co_u32 v21, s0, v56, v10
	s_wait_alu 0xf1ff
	v_add_co_ci_u32_e64 v22, s0, v57, v11, s0
	v_mad_co_u64_u32 v[10:11], null, s3, v49, v[18:19]
	s_delay_alu instid0(VALU_DEP_4) | instskip(SKIP_3) | instid1(VALU_DEP_3)
	v_mov_b32_e32 v11, v17
	v_add_co_u32 v14, s0, v56, v14
	s_wait_alu 0xf1ff
	v_add_co_ci_u32_e64 v15, s0, v57, v15, s0
	v_mad_co_u64_u32 v[17:18], null, s3, v53, v[11:12]
	v_mov_b32_e32 v20, v10
	s_clause 0x3
	global_load_b64 v[10:11], v[8:9], off
	global_load_b64 v[12:13], v[12:13], off
	;; [unrolled: 1-line block ×4, first 2 shown]
	v_mad_co_u64_u32 v[21:22], null, s2, v51, 0
	v_mov_b32_e32 v67, v49
	v_lshlrev_b64_e32 v[18:19], 3, v[19:20]
	v_mov_b32_e32 v20, v27
	v_lshlrev_b64_e32 v[16:17], 3, v[16:17]
	s_delay_alu instid0(VALU_DEP_2)
	v_mad_co_u64_u32 v[27:28], null, s3, v46, v[20:21]
	v_mad_co_u64_u32 v[28:29], null, s2, v34, 0
	v_mov_b32_e32 v20, v22
	v_add_co_u32 v18, s0, v56, v18
	s_wait_alu 0xf1ff
	v_add_co_ci_u32_e64 v19, s0, v57, v19, s0
	s_delay_alu instid0(VALU_DEP_3) | instskip(SKIP_3) | instid1(VALU_DEP_3)
	v_mad_co_u64_u32 v[22:23], null, s3, v51, v[20:21]
	v_dual_mov_b32 v20, v29 :: v_dual_add_nc_u32 v23, 0xb4, v44
	v_lshlrev_b64_e32 v[26:27], 3, v[26:27]
	v_add_co_u32 v16, s0, v56, v16
	v_mad_co_u64_u32 v[32:33], null, s3, v34, v[20:21]
	v_mov_b32_e32 v20, v31
	s_wait_alu 0xf1ff
	v_add_co_ci_u32_e64 v17, s0, v57, v17, s0
	v_add_co_u32 v26, s0, v56, v26
	s_delay_alu instid0(VALU_DEP_3)
	v_mad_co_u64_u32 v[39:40], null, s3, v39, v[20:21]
	v_lshlrev_b64_e32 v[21:22], 3, v[21:22]
	v_mad_co_u64_u32 v[40:41], null, s2, v23, 0
	v_dual_mov_b32 v20, v38 :: v_dual_mov_b32 v29, v32
	s_wait_alu 0xf1ff
	v_add_co_ci_u32_e64 v27, s0, v57, v27, s0
	s_delay_alu instid0(VALU_DEP_4) | instskip(NEXT) | instid1(VALU_DEP_3)
	v_add_co_u32 v42, s0, v56, v21
	v_mad_co_u64_u32 v[32:33], null, s3, v35, v[20:21]
	s_wait_alu 0xf1ff
	v_add_co_ci_u32_e64 v43, s0, v57, v22, s0
	v_lshlrev_b64_e32 v[21:22], 3, v[28:29]
	v_dual_mov_b32 v20, v41 :: v_dual_mov_b32 v31, v39
	s_delay_alu instid0(VALU_DEP_4) | instskip(NEXT) | instid1(VALU_DEP_2)
	v_mov_b32_e32 v38, v32
	v_mad_co_u64_u32 v[28:29], null, s3, v23, v[20:21]
	s_delay_alu instid0(VALU_DEP_3) | instskip(SKIP_1) | instid1(VALU_DEP_4)
	v_lshlrev_b64_e32 v[29:30], 3, v[30:31]
	v_add_co_u32 v54, s0, v56, v21
	v_lshlrev_b64_e32 v[20:21], 3, v[37:38]
	s_wait_alu 0xf1ff
	v_add_co_ci_u32_e64 v55, s0, v57, v22, s0
	v_mov_b32_e32 v41, v28
	v_add_co_u32 v22, s0, v56, v29
	s_wait_alu 0xf1ff
	v_add_co_ci_u32_e64 v23, s0, v57, v30, s0
	s_delay_alu instid0(VALU_DEP_3) | instskip(SKIP_3) | instid1(VALU_DEP_3)
	v_lshlrev_b64_e32 v[28:29], 3, v[40:41]
	v_add_co_u32 v37, s0, v56, v20
	s_wait_alu 0xf1ff
	v_add_co_ci_u32_e64 v38, s0, v57, v21, s0
	v_add_co_u32 v39, s0, v56, v28
	s_wait_alu 0xf1ff
	v_add_co_ci_u32_e64 v40, s0, v57, v29, s0
	s_clause 0x7
	global_load_b64 v[28:29], v[18:19], off
	global_load_b64 v[32:33], v[16:17], off
	;; [unrolled: 1-line block ×8, first 2 shown]
	v_mov_b32_e32 v55, v47
	v_dual_mov_b32 v37, v46 :: v_dual_mov_b32 v56, v48
	v_mov_b32_e32 v54, v45
.LBB0_8:
	s_or_b32 exec_lo, exec_lo, s1
	s_wait_loadcnt 0xe
	v_dual_sub_f32 v5, v1, v5 :: v_dual_and_b32 v36, 15, v36
	s_wait_loadcnt 0xc
	v_dual_sub_f32 v4, v0, v4 :: v_dual_sub_f32 v7, v3, v7
	s_wait_loadcnt 0xa
	v_dual_sub_f32 v6, v2, v6 :: v_dual_sub_f32 v13, v11, v13
	v_mul_u32_u24_e32 v36, 0xc0, v36
	s_wait_loadcnt 0x8
	v_dual_sub_f32 v12, v10, v12 :: v_dual_sub_f32 v15, v9, v15
	s_wait_loadcnt 0x6
	v_dual_sub_f32 v14, v8, v14 :: v_dual_sub_f32 v33, v29, v33
	s_wait_loadcnt 0x0
	v_dual_sub_f32 v23, v17, v23 :: v_dual_lshlrev_b32 v66, 3, v36
	v_fma_f32 v0, v0, 2.0, -v4
	v_fma_f32 v1, v1, 2.0, -v5
	v_dual_sub_f32 v32, v28, v32 :: v_dual_sub_f32 v31, v21, v31
	s_delay_alu instid0(VALU_DEP_4) | instskip(SKIP_3) | instid1(VALU_DEP_4)
	v_add_nc_u32_e32 v36, 0, v66
	v_fma_f32 v2, v2, 2.0, -v6
	v_fma_f32 v3, v3, 2.0, -v7
	v_dual_sub_f32 v30, v20, v30 :: v_dual_sub_f32 v27, v19, v27
	v_lshl_add_u32 v38, v44, 4, v36
	v_lshl_add_u32 v39, v54, 4, v36
	v_fma_f32 v10, v10, 2.0, -v12
	v_fma_f32 v11, v11, 2.0, -v13
	v_sub_f32_e32 v26, v18, v26
	v_lshl_add_u32 v40, v55, 4, v36
	v_fma_f32 v8, v8, 2.0, -v14
	v_fma_f32 v9, v9, 2.0, -v15
	v_sub_f32_e32 v22, v16, v22
	v_lshl_add_u32 v41, v56, 4, v36
	v_fma_f32 v28, v28, 2.0, -v32
	v_fma_f32 v29, v29, 2.0, -v33
	ds_store_2addr_b64 v38, v[0:1], v[4:5] offset1:1
	ds_store_2addr_b64 v39, v[2:3], v[6:7] offset1:1
	;; [unrolled: 1-line block ×4, first 2 shown]
	v_lshl_add_u32 v0, v67, 4, v36
	v_and_b32_e32 v4, 1, v44
	v_fma_f32 v20, v20, 2.0, -v30
	v_fma_f32 v21, v21, 2.0, -v31
	v_lshl_add_u32 v1, v37, 4, v36
	v_fma_f32 v18, v18, 2.0, -v26
	v_fma_f32 v19, v19, 2.0, -v27
	v_lshl_add_u32 v2, v34, 4, v36
	;; [unrolled: 3-line block ×3, first 2 shown]
	ds_store_2addr_b64 v0, v[28:29], v[32:33] offset1:1
	ds_store_2addr_b64 v1, v[20:21], v[30:31] offset1:1
	;; [unrolled: 1-line block ×4, first 2 shown]
	v_lshlrev_b32_e32 v0, 3, v4
	global_wb scope:SCOPE_SE
	s_wait_dscnt 0x0
	s_wait_kmcnt 0x0
	s_barrier_signal -1
	s_barrier_wait -1
	global_inv scope:SCOPE_SE
	global_load_b64 v[12:13], v0, s[6:7]
	v_lshlrev_b32_e32 v0, 1, v54
	v_lshlrev_b32_e32 v1, 1, v55
	;; [unrolled: 1-line block ×5, first 2 shown]
	v_and_or_b32 v0, v0, 60, v4
	v_and_or_b32 v1, 0x7c, v1, v4
	v_and_or_b32 v2, 0x7c, v2, v4
	v_and_or_b32 v3, 0x7c, v3, v4
	v_add3_u32 v60, 0, v8, v66
	v_lshl_add_u32 v39, v0, 3, v36
	v_lshl_add_u32 v40, v1, 3, v36
	;; [unrolled: 1-line block ×4, first 2 shown]
	ds_load_2addr_b64 v[0:3], v60 offset0:96 offset1:108
	v_lshlrev_b32_e32 v38, 1, v44
	v_lshlrev_b32_e32 v5, 1, v37
	;; [unrolled: 1-line block ×4, first 2 shown]
	v_cmp_gt_u16_e64 s0, 4, v44
	s_wait_loadcnt_dscnt 0x0
	v_mul_f32_e32 v72, v13, v2
	v_mul_f32_e32 v70, v13, v0
	;; [unrolled: 1-line block ×3, first 2 shown]
	v_and_or_b32 v9, v38, 28, v4
	v_and_or_b32 v5, 0xfc, v5, v4
	;; [unrolled: 1-line block ×4, first 2 shown]
	v_mul_f32_e32 v69, v13, v1
	v_add_nc_u32_e32 v61, v36, v8
	v_lshl_add_u32 v63, v55, 3, v36
	v_lshl_add_u32 v62, v54, 3, v36
	v_dual_fmac_f32 v71, v12, v2 :: v_dual_add_nc_u32 v26, 0x400, v60
	v_lshl_add_u32 v64, v56, 3, v36
	v_lshl_add_u32 v65, v67, 3, v36
	;; [unrolled: 1-line block ×9, first 2 shown]
	ds_load_2addr_b64 v[4:7], v60 offset0:120 offset1:132
	ds_load_b64 v[14:15], v61
	ds_load_b64 v[16:17], v63
	ds_load_2addr_b64 v[8:11], v60 offset0:144 offset1:156
	ds_load_b64 v[18:19], v62
	ds_load_b64 v[20:21], v60 offset:1344
	ds_load_b64 v[22:23], v64
	ds_load_b64 v[28:29], v65
	;; [unrolled: 1-line block ×4, first 2 shown]
	ds_load_2addr_b32 v[26:27], v26 offset0:104 offset1:105
	ds_load_b64 v[34:35], v59
	v_fmac_f32_e32 v69, v12, v0
	v_fma_f32 v1, v12, v1, -v70
	v_fma_f32 v3, v12, v3, -v72
	global_wb scope:SCOPE_SE
	s_wait_dscnt 0x0
	s_barrier_signal -1
	s_barrier_wait -1
	global_inv scope:SCOPE_SE
	v_mul_f32_e32 v73, v13, v5
	v_mul_f32_e32 v75, v13, v7
	;; [unrolled: 1-line block ×6, first 2 shown]
	v_dual_fmac_f32 v75, v12, v6 :: v_dual_mul_f32 v78, v13, v8
	v_mul_f32_e32 v80, v13, v10
	v_mul_f32_e32 v81, v13, v21
	v_dual_mul_f32 v83, v27, v13 :: v_dual_mul_f32 v82, v13, v20
	v_dual_mul_f32 v13, v13, v26 :: v_dual_sub_f32 v0, v14, v69
	v_dual_fmac_f32 v73, v12, v4 :: v_dual_sub_f32 v2, v18, v71
	v_fma_f32 v5, v12, v5, -v74
	v_fma_f32 v7, v12, v7, -v76
	v_dual_fmac_f32 v77, v12, v8 :: v_dual_sub_f32 v6, v22, v75
	v_fmac_f32_e32 v79, v12, v10
	v_fma_f32 v9, v12, v9, -v78
	v_fma_f32 v11, v12, v11, -v80
	v_fmac_f32_e32 v81, v12, v20
	s_delay_alu instid0(VALU_DEP_4) | instskip(SKIP_2) | instid1(VALU_DEP_3)
	v_dual_fmac_f32 v83, v12, v26 :: v_dual_sub_f32 v10, v30, v79
	v_fma_f32 v20, v12, v21, -v82
	v_fma_f32 v21, v27, v12, -v13
	v_dual_sub_f32 v1, v15, v1 :: v_dual_sub_f32 v26, v34, v83
	v_dual_sub_f32 v3, v19, v3 :: v_dual_sub_f32 v4, v16, v73
	v_sub_f32_e32 v5, v17, v5
	v_dual_sub_f32 v7, v23, v7 :: v_dual_sub_f32 v8, v28, v77
	v_sub_f32_e32 v9, v29, v9
	;; [unrolled: 2-line block ×3, first 2 shown]
	v_sub_f32_e32 v27, v35, v21
	v_fma_f32 v14, v14, 2.0, -v0
	v_fma_f32 v15, v15, 2.0, -v1
	v_fma_f32 v18, v18, 2.0, -v2
	v_fma_f32 v19, v19, 2.0, -v3
	v_fma_f32 v16, v16, 2.0, -v4
	v_fma_f32 v17, v17, 2.0, -v5
	v_fma_f32 v20, v22, 2.0, -v6
	v_fma_f32 v21, v23, 2.0, -v7
	v_fma_f32 v22, v28, 2.0, -v8
	v_fma_f32 v23, v29, 2.0, -v9
	v_fma_f32 v28, v30, 2.0, -v10
	v_fma_f32 v29, v31, 2.0, -v11
	v_fma_f32 v30, v32, 2.0, -v12
	v_fma_f32 v31, v33, 2.0, -v13
	v_fma_f32 v32, v34, 2.0, -v26
	v_fma_f32 v33, v35, 2.0, -v27
	ds_store_2addr_b64 v37, v[14:15], v[0:1] offset1:2
	ds_store_2addr_b64 v39, v[18:19], v[2:3] offset1:2
	;; [unrolled: 1-line block ×8, first 2 shown]
	global_wb scope:SCOPE_SE
	s_wait_dscnt 0x0
	s_barrier_signal -1
	s_barrier_wait -1
	global_inv scope:SCOPE_SE
	ds_load_2addr_b64 v[8:11], v60 offset0:64 offset1:76
	ds_load_2addr_b64 v[4:7], v60 offset0:112 offset1:128
	;; [unrolled: 1-line block ×4, first 2 shown]
	ds_load_b64 v[36:37], v61
	ds_load_b64 v[34:35], v62
	ds_load_b64 v[30:31], v63
	ds_load_b64 v[32:33], v64
	ds_load_2addr_b64 v[20:23], v60 offset0:164 offset1:176
	ds_load_b64 v[28:29], v65
                                        ; implicit-def: $vgpr3
	s_and_saveexec_b32 s1, s0
	s_cbranch_execz .LBB0_10
; %bb.9:
	ds_load_b64 v[26:27], v57
	ds_load_2addr_b64 v[0:3], v60 offset0:124 offset1:188
.LBB0_10:
	s_wait_alu 0xfffe
	s_or_b32 exec_lo, exec_lo, s1
	v_and_b32_e32 v38, 6, v38
	v_lshrrev_b32_e32 v72, 2, v54
	v_lshrrev_b32_e32 v73, 2, v55
	;; [unrolled: 1-line block ×4, first 2 shown]
	v_lshlrev_b32_e32 v68, 3, v38
	v_lshrrev_b32_e32 v67, 2, v67
	v_mul_lo_u32 v72, v72, 12
	v_mul_lo_u32 v73, v73, 12
	;; [unrolled: 1-line block ×3, first 2 shown]
	s_clause 0x1
	global_load_b64 v[38:39], v68, s[6:7] offset:16
	global_load_b64 v[40:41], v68, s[6:7] offset:24
	v_and_b32_e32 v69, 3, v44
	v_mul_u32_u24_e32 v71, 12, v71
	v_mul_lo_u32 v67, v67, 12
	s_delay_alu instid0(VALU_DEP_3) | instskip(NEXT) | instid1(VALU_DEP_3)
	v_lshlrev_b32_e32 v42, 4, v69
	v_or_b32_e32 v71, v71, v69
	v_or_b32_e32 v72, v72, v69
	;; [unrolled: 1-line block ×5, first 2 shown]
	v_lshlrev_b32_e32 v69, 3, v71
	v_lshlrev_b32_e32 v71, 3, v72
	;; [unrolled: 1-line block ×4, first 2 shown]
	s_wait_loadcnt_dscnt 0x106
	v_dual_mul_f32 v82, v39, v17 :: v_dual_lshlrev_b32 v67, 3, v67
	s_wait_loadcnt 0x0
	v_mul_f32_e32 v77, v41, v6
	v_mul_f32_e32 v81, v41, v12
	s_clause 0x1
	global_load_b32 v70, v42, s[6:7] offset:16
	global_load_b64 v[42:43], v68, s[6:7] offset:20
	v_mul_f32_e32 v74, v39, v9
	v_dual_mul_f32 v75, v39, v8 :: v_dual_mul_f32 v76, v41, v7
	v_mul_f32_e32 v78, v39, v11
	v_dual_mul_f32 v79, v39, v10 :: v_dual_mul_f32 v80, v41, v13
	v_dual_mul_f32 v83, v39, v16 :: v_dual_mul_f32 v84, v41, v15
	v_dual_mul_f32 v85, v41, v14 :: v_dual_mul_f32 v86, v39, v19
	s_wait_dscnt 0x1
	v_mul_f32_e32 v91, v41, v23
	v_dual_mul_f32 v87, v39, v18 :: v_dual_mul_f32 v88, v41, v21
	v_dual_mul_f32 v89, v41, v20 :: v_dual_mul_f32 v90, v39, v5
	v_mul_f32_e32 v39, v39, v4
	v_mul_f32_e32 v41, v41, v22
	v_add3_u32 v69, 0, v69, v66
	v_add3_u32 v71, 0, v71, v66
	;; [unrolled: 1-line block ×3, first 2 shown]
	global_wb scope:SCOPE_SE
	s_wait_loadcnt_dscnt 0x0
	s_barrier_signal -1
	s_barrier_wait -1
	global_inv scope:SCOPE_SE
	v_add3_u32 v73, 0, v73, v66
	v_add3_u32 v67, 0, v67, v66
	v_fmac_f32_e32 v74, v70, v8
	v_fmac_f32_e32 v80, v43, v12
	v_fma_f32 v8, v70, v9, -v75
	v_fmac_f32_e32 v76, v43, v6
	v_fma_f32 v6, v43, v7, -v77
	;; [unrolled: 2-line block ×3, first 2 shown]
	v_fma_f32 v9, v43, v13, -v81
	v_dual_fmac_f32 v82, v70, v16 :: v_dual_fmac_f32 v91, v43, v22
	v_fma_f32 v10, v70, v17, -v83
	v_fma_f32 v11, v43, v15, -v85
	v_dual_add_f32 v17, v37, v8 :: v_dual_fmac_f32 v84, v43, v14
	v_add_f32_e32 v15, v74, v76
	v_fmac_f32_e32 v86, v70, v18
	v_fma_f32 v12, v70, v19, -v87
	v_fmac_f32_e32 v88, v43, v20
	v_fma_f32 v13, v43, v21, -v89
	;; [unrolled: 2-line block ×3, first 2 shown]
	v_fma_f32 v14, v43, v23, -v41
	v_dual_add_f32 v23, v7, v9 :: v_dual_sub_f32 v16, v8, v6
	v_dual_sub_f32 v39, v78, v80 :: v_dual_add_f32 v8, v8, v6
	v_add_f32_e32 v43, v82, v84
	v_add_f32_e32 v5, v36, v74
	v_dual_add_f32 v19, v34, v78 :: v_dual_add_f32 v22, v35, v7
	v_dual_add_f32 v20, v78, v80 :: v_dual_sub_f32 v79, v12, v13
	v_dual_sub_f32 v21, v7, v9 :: v_dual_sub_f32 v18, v74, v76
	v_dual_add_f32 v77, v32, v86 :: v_dual_sub_f32 v70, v10, v11
	v_dual_add_f32 v81, v33, v12 :: v_dual_add_f32 v74, v31, v10
	v_sub_f32_e32 v75, v82, v84
	v_dual_add_f32 v10, v10, v11 :: v_dual_add_f32 v83, v28, v90
	v_dual_add_f32 v41, v30, v82 :: v_dual_add_f32 v12, v12, v13
	;; [unrolled: 1-line block ×3, first 2 shown]
	v_add_f32_e32 v85, v90, v91
	v_dual_add_f32 v87, v29, v4 :: v_dual_sub_f32 v90, v90, v91
	v_fma_f32 v36, -0.5, v15, v36
	v_fmac_f32_e32 v37, -0.5, v8
	v_sub_f32_e32 v82, v86, v88
	v_sub_f32_e32 v86, v4, v14
	v_dual_add_f32 v4, v5, v76 :: v_dual_add_f32 v7, v22, v9
	v_dual_add_f32 v5, v17, v6 :: v_dual_add_f32 v6, v19, v80
	v_fmac_f32_e32 v35, -0.5, v23
	v_fma_f32 v34, -0.5, v20, v34
	v_fma_f32 v30, -0.5, v43, v30
	v_dual_fmac_f32 v31, -0.5, v10 :: v_dual_add_f32 v10, v77, v88
	v_dual_add_f32 v8, v41, v84 :: v_dual_add_f32 v9, v74, v11
	v_fma_f32 v32, -0.5, v78, v32
	v_add_f32_e32 v11, v81, v13
	v_dual_fmac_f32 v33, -0.5, v12 :: v_dual_add_f32 v12, v83, v91
	v_fma_f32 v28, -0.5, v85, v28
	v_add_f32_e32 v13, v87, v14
	v_dual_fmac_f32 v29, -0.5, v89 :: v_dual_fmamk_f32 v14, v16, 0xbf5db3d7, v36
	v_dual_fmamk_f32 v15, v18, 0x3f5db3d7, v37 :: v_dual_fmac_f32 v36, 0x3f5db3d7, v16
	v_dual_fmac_f32 v37, 0xbf5db3d7, v18 :: v_dual_fmamk_f32 v20, v79, 0xbf5db3d7, v32
	v_fmamk_f32 v16, v21, 0xbf5db3d7, v34
	v_dual_fmamk_f32 v17, v39, 0x3f5db3d7, v35 :: v_dual_fmac_f32 v34, 0x3f5db3d7, v21
	v_dual_fmac_f32 v35, 0xbf5db3d7, v39 :: v_dual_fmamk_f32 v22, v86, 0xbf5db3d7, v28
	v_fmamk_f32 v18, v70, 0xbf5db3d7, v30
	v_dual_fmamk_f32 v19, v75, 0x3f5db3d7, v31 :: v_dual_fmac_f32 v32, 0x3f5db3d7, v79
	v_fmac_f32_e32 v30, 0x3f5db3d7, v70
	v_fmac_f32_e32 v31, 0xbf5db3d7, v75
	v_dual_fmamk_f32 v21, v82, 0x3f5db3d7, v33 :: v_dual_fmac_f32 v28, 0x3f5db3d7, v86
	v_fmac_f32_e32 v33, 0xbf5db3d7, v82
	v_fmamk_f32 v23, v90, 0x3f5db3d7, v29
	v_fmac_f32_e32 v29, 0xbf5db3d7, v90
	ds_store_2addr_b64 v69, v[4:5], v[14:15] offset1:4
	ds_store_b64 v69, v[36:37] offset:64
	ds_store_2addr_b64 v71, v[6:7], v[16:17] offset1:4
	ds_store_b64 v71, v[34:35] offset:64
	;; [unrolled: 2-line block ×5, first 2 shown]
	s_and_saveexec_b32 s1, s0
	s_cbranch_execz .LBB0_12
; %bb.11:
	v_add_co_u32 v4, s0, s6, v68
	s_wait_alu 0xf1ff
	v_add_co_ci_u32_e64 v5, null, s7, 0, s0
	global_load_b32 v4, v[4:5], off offset:28
	v_mul_f32_e32 v5, v0, v42
	s_wait_loadcnt 0x0
	v_dual_mul_f32 v7, v1, v42 :: v_dual_mul_f32 v6, v2, v4
	v_mul_f32_e32 v4, v3, v4
	s_delay_alu instid0(VALU_DEP_3) | instskip(NEXT) | instid1(VALU_DEP_3)
	v_fma_f32 v5, v1, v38, -v5
	v_fmac_f32_e32 v7, v0, v38
	s_delay_alu instid0(VALU_DEP_4) | instskip(NEXT) | instid1(VALU_DEP_4)
	v_fma_f32 v3, v3, v40, -v6
	v_fmac_f32_e32 v4, v2, v40
	s_delay_alu instid0(VALU_DEP_4) | instskip(NEXT) | instid1(VALU_DEP_4)
	v_add_f32_e32 v2, v27, v5
	v_add_f32_e32 v8, v26, v7
	s_delay_alu instid0(VALU_DEP_4) | instskip(NEXT) | instid1(VALU_DEP_4)
	v_add_f32_e32 v0, v5, v3
	v_add_f32_e32 v6, v7, v4
	v_sub_f32_e32 v7, v7, v4
	v_sub_f32_e32 v9, v5, v3
	v_add_f32_e32 v3, v2, v3
	v_fma_f32 v1, -0.5, v0, v27
	v_fma_f32 v0, -0.5, v6, v26
	s_delay_alu instid0(VALU_DEP_2) | instskip(NEXT) | instid1(VALU_DEP_2)
	v_dual_fmamk_f32 v5, v7, 0xbf5db3d7, v1 :: v_dual_add_f32 v2, v8, v4
	v_dual_fmac_f32 v1, 0x3f5db3d7, v7 :: v_dual_fmamk_f32 v4, v9, 0x3f5db3d7, v0
	v_fmac_f32_e32 v0, 0xbf5db3d7, v9
	ds_store_2addr_b64 v60, v[2:3], v[0:1] offset0:180 offset1:184
	ds_store_b64 v60, v[4:5] offset:1504
.LBB0_12:
	s_wait_alu 0xfffe
	s_or_b32 exec_lo, exec_lo, s1
	v_mul_u32_u24_e32 v0, 3, v44
	global_wb scope:SCOPE_SE
	s_wait_dscnt 0x0
	s_barrier_signal -1
	s_barrier_wait -1
	global_inv scope:SCOPE_SE
	v_lshlrev_b32_e32 v0, 3, v0
	s_clause 0x1
	global_load_b128 v[1:4], v0, s[6:7] offset:80
	global_load_b64 v[21:22], v0, s[6:7] offset:96
	v_and_b32_e32 v5, 0xff, v55
	v_and_b32_e32 v6, 0xff, v56
	s_delay_alu instid0(VALU_DEP_2) | instskip(NEXT) | instid1(VALU_DEP_2)
	v_mul_lo_u16 v5, 0xab, v5
	v_mul_lo_u16 v6, 0xab, v6
	s_delay_alu instid0(VALU_DEP_2) | instskip(NEXT) | instid1(VALU_DEP_2)
	v_lshrrev_b16 v5, 11, v5
	v_lshrrev_b16 v6, 11, v6
	s_delay_alu instid0(VALU_DEP_2) | instskip(NEXT) | instid1(VALU_DEP_2)
	v_mul_lo_u16 v5, v5, 12
	v_mul_lo_u16 v6, v6, 12
	s_delay_alu instid0(VALU_DEP_2) | instskip(NEXT) | instid1(VALU_DEP_1)
	v_sub_nc_u16 v5, v55, v5
	v_and_b32_e32 v23, 0xff, v5
	s_delay_alu instid0(VALU_DEP_3) | instskip(NEXT) | instid1(VALU_DEP_2)
	v_sub_nc_u16 v5, v56, v6
	v_mul_u32_u24_e32 v6, 3, v23
	s_delay_alu instid0(VALU_DEP_2) | instskip(NEXT) | instid1(VALU_DEP_2)
	v_and_b32_e32 v71, 0xff, v5
	v_lshlrev_b32_e32 v9, 3, v6
	s_delay_alu instid0(VALU_DEP_2)
	v_mul_u32_u24_e32 v10, 3, v71
	global_load_b128 v[5:8], v9, s[6:7] offset:80
	v_lshlrev_b32_e32 v13, 3, v10
	s_clause 0x2
	global_load_b64 v[30:31], v9, s[6:7] offset:96
	global_load_b128 v[9:12], v13, s[6:7] offset:80
	global_load_b64 v[32:33], v13, s[6:7] offset:96
	ds_load_b64 v[34:35], v65
	ds_load_2addr_b64 v[13:16], v60 offset0:144 offset1:156
	ds_load_b64 v[36:37], v61
	ds_load_b64 v[38:39], v60 offset:768
	ds_load_b64 v[40:41], v57
	ds_load_2addr_b32 v[42:43], v60 offset0:216 offset1:217
	ds_load_b64 v[67:68], v62
	ds_load_b64 v[69:70], v63
	ds_load_2addr_b64 v[17:20], v60 offset0:120 offset1:132
	ds_load_2addr_b64 v[26:29], v60 offset0:168 offset1:180
	v_lshlrev_b32_e32 v77, 3, v71
	ds_load_b64 v[71:72], v64
	ds_load_b64 v[73:74], v58
	;; [unrolled: 1-line block ×3, first 2 shown]
	global_wb scope:SCOPE_SE
	s_wait_loadcnt_dscnt 0x0
	s_barrier_signal -1
	s_barrier_wait -1
	global_inv scope:SCOPE_SE
	v_dual_mul_f32 v80, v4, v38 :: v_dual_lshlrev_b32 v23, 3, v23
	v_mul_f32_e32 v81, v22, v14
	v_mul_f32_e32 v82, v22, v13
	v_dual_mul_f32 v78, v2, v34 :: v_dual_mul_f32 v79, v4, v39
	v_dual_mul_f32 v84, v43, v4 :: v_dual_mul_f32 v83, v2, v41
	v_mul_f32_e32 v4, v4, v42
	v_add3_u32 v23, 0, v23, v66
	v_fmac_f32_e32 v81, v21, v13
	v_fma_f32 v13, v21, v14, -v82
	v_mul_f32_e32 v85, v16, v22
	v_mul_f32_e32 v22, v15, v22
	v_add3_u32 v66, 0, v77, v66
	v_mul_f32_e32 v77, v2, v35
	v_mul_f32_e32 v2, v2, v40
	v_dual_fmac_f32 v84, v3, v42 :: v_dual_fmac_f32 v83, v1, v40
	s_delay_alu instid0(VALU_DEP_3)
	v_fmac_f32_e32 v77, v1, v34
	v_fma_f32 v34, v1, v35, -v78
	v_fma_f32 v35, v3, v39, -v80
	;; [unrolled: 1-line block ×5, first 2 shown]
	v_sub_f32_e32 v4, v34, v13
	v_dual_sub_f32 v16, v37, v35 :: v_dual_fmac_f32 v79, v3, v38
	s_delay_alu instid0(VALU_DEP_4) | instskip(SKIP_1) | instid1(VALU_DEP_4)
	v_sub_f32_e32 v38, v68, v1
	v_sub_f32_e32 v3, v77, v81
	v_fma_f32 v34, v34, 2.0, -v4
	s_delay_alu instid0(VALU_DEP_4) | instskip(SKIP_1) | instid1(VALU_DEP_4)
	v_fma_f32 v37, v37, 2.0, -v16
	v_fmac_f32_e32 v85, v15, v21
	v_dual_sub_f32 v21, v14, v2 :: v_dual_sub_f32 v2, v16, v3
	v_sub_f32_e32 v15, v36, v79
	v_fma_f32 v22, v77, 2.0, -v3
	v_sub_f32_e32 v35, v67, v84
	s_delay_alu instid0(VALU_DEP_4)
	v_fma_f32 v42, v14, 2.0, -v21
	v_dual_sub_f32 v14, v37, v34 :: v_dual_sub_f32 v13, v83, v85
	v_fma_f32 v36, v36, 2.0, -v15
	v_add_f32_e32 v1, v15, v4
	v_fma_f32 v40, v68, 2.0, -v38
	v_fma_f32 v16, v16, 2.0, -v2
	v_sub_f32_e32 v4, v38, v13
	v_fma_f32 v41, v83, 2.0, -v13
	v_sub_f32_e32 v13, v36, v22
	;; [unrolled: 2-line block ×3, first 2 shown]
	ds_store_2addr_b64 v60, v[13:14], v[1:2] offset0:24 offset1:36
	v_mul_f32_e32 v2, v73, v6
	v_fma_f32 v15, v15, 2.0, -v1
	v_mul_f32_e32 v1, v74, v6
	v_mul_f32_e32 v6, v18, v8
	;; [unrolled: 1-line block ×4, first 2 shown]
	v_fma_f32 v39, v67, 2.0, -v35
	v_fmac_f32_e32 v1, v73, v5
	v_fma_f32 v2, v74, v5, -v2
	v_fmac_f32_e32 v6, v17, v7
	v_fma_f32 v5, v18, v7, -v8
	v_fma_f32 v7, v27, v30, -v14
	v_add_f32_e32 v3, v35, v21
	v_sub_f32_e32 v21, v39, v41
	v_mul_f32_e32 v41, v29, v33
	v_mul_f32_e32 v33, v28, v33
	s_delay_alu instid0(VALU_DEP_4)
	v_fma_f32 v34, v35, 2.0, -v3
	v_fma_f32 v35, v38, 2.0, -v4
	;; [unrolled: 1-line block ×4, first 2 shown]
	v_mul_f32_e32 v40, v20, v12
	v_mul_f32_e32 v12, v19, v12
	v_fma_f32 v36, v36, 2.0, -v13
	v_mul_f32_e32 v13, v27, v31
	v_mul_f32_e32 v31, v76, v10
	v_dual_mul_f32 v10, v75, v10 :: v_dual_fmac_f32 v41, v28, v32
	v_fmac_f32_e32 v40, v19, v11
	s_delay_alu instid0(VALU_DEP_3) | instskip(NEXT) | instid1(VALU_DEP_3)
	v_fmac_f32_e32 v31, v75, v9
	v_fma_f32 v8, v76, v9, -v10
	v_fma_f32 v9, v20, v11, -v12
	v_sub_f32_e32 v12, v70, v5
	v_fmac_f32_e32 v13, v26, v30
	v_fma_f32 v10, v29, v32, -v33
	s_delay_alu instid0(VALU_DEP_4) | instskip(NEXT) | instid1(VALU_DEP_3)
	v_sub_f32_e32 v14, v72, v9
	v_sub_f32_e32 v5, v1, v13
	v_dual_sub_f32 v11, v69, v6 :: v_dual_sub_f32 v6, v2, v7
	v_sub_f32_e32 v7, v31, v41
	v_sub_f32_e32 v9, v8, v10
	s_delay_alu instid0(VALU_DEP_4)
	v_fma_f32 v10, v1, 2.0, -v5
	v_fma_f32 v19, v72, 2.0, -v14
	;; [unrolled: 1-line block ×3, first 2 shown]
	v_dual_sub_f32 v2, v12, v5 :: v_dual_add_f32 v1, v11, v6
	v_sub_f32_e32 v6, v14, v7
	ds_store_2addr_b64 v60, v[36:37], v[15:16] offset1:12
	ds_store_b64 v65, v[38:39]
	ds_store_2addr_b64 v60, v[34:35], v[21:22] offset0:60 offset1:72
	v_fma_f32 v16, v70, 2.0, -v12
	v_sub_f32_e32 v13, v71, v40
	v_fma_f32 v15, v69, 2.0, -v11
	v_fma_f32 v20, v31, 2.0, -v7
	;; [unrolled: 1-line block ×3, first 2 shown]
	v_sub_f32_e32 v8, v16, v17
	v_fma_f32 v18, v71, 2.0, -v13
	v_sub_f32_e32 v7, v15, v10
	v_add_f32_e32 v5, v13, v9
	v_fma_f32 v9, v11, 2.0, -v1
	v_fma_f32 v10, v12, 2.0, -v2
	v_dual_sub_f32 v11, v18, v20 :: v_dual_sub_f32 v12, v19, v21
	v_fma_f32 v15, v15, 2.0, -v7
	v_fma_f32 v16, v16, 2.0, -v8
	;; [unrolled: 1-line block ×6, first 2 shown]
	ds_store_b64 v60, v[3:4] offset:672
	ds_store_2addr_b64 v23, v[7:8], v[1:2] offset0:120 offset1:132
	ds_store_2addr_b64 v66, v[11:12], v[5:6] offset0:168 offset1:180
	;; [unrolled: 1-line block ×4, first 2 shown]
	global_wb scope:SCOPE_SE
	s_wait_dscnt 0x0
	s_barrier_signal -1
	s_barrier_wait -1
	global_inv scope:SCOPE_SE
	s_and_saveexec_b32 s0, vcc_lo
	s_cbranch_execz .LBB0_14
; %bb.13:
	v_add_co_u32 v4, s0, s6, v0
	s_wait_alu 0xf1fe
	v_add_co_ci_u32_e64 v5, null, s7, 0, s0
	v_mul_i32_i24_e32 v12, 3, v56
	v_mov_b32_e32 v13, 0
	v_mad_co_u64_u32 v[67:68], null, s2, v51, 0
	s_clause 0x1
	global_load_b128 v[0:3], v[4:5], off offset:368
	global_load_b64 v[28:29], v[4:5], off offset:384
	v_lshlrev_b64_e32 v[4:5], 3, v[12:13]
	v_mul_i32_i24_e32 v12, 3, v55
	v_mul_hi_u32 v69, 0x5555556, v47
	v_mad_co_u64_u32 v[26:27], null, s2, v44, 0
	v_mad_co_u64_u32 v[42:43], null, s2, v45, 0
	v_add_co_u32 v8, vcc_lo, s6, v4
	s_wait_alu 0xfffd
	v_add_co_ci_u32_e32 v9, vcc_lo, s7, v5, vcc_lo
	s_clause 0x1
	global_load_b128 v[4:7], v[8:9], off offset:368
	global_load_b64 v[30:31], v[8:9], off offset:384
	v_lshlrev_b64_e32 v[8:9], 3, v[12:13]
	v_mul_i32_i24_e32 v12, 3, v54
	v_mul_hi_u32 v70, 0x5555556, v48
	v_mad_co_u64_u32 v[54:55], null, s2, v46, 0
	v_mad_co_u64_u32 v[38:39], null, s2, v52, 0
	s_delay_alu instid0(VALU_DEP_4)
	v_lshlrev_b64_e32 v[12:13], 3, v[12:13]
	v_add_co_u32 v14, vcc_lo, s6, v8
	s_wait_alu 0xfffd
	v_add_co_ci_u32_e32 v15, vcc_lo, s7, v9, vcc_lo
	s_clause 0x1
	global_load_b128 v[8:11], v[14:15], off offset:368
	global_load_b64 v[32:33], v[14:15], off offset:384
	v_add_co_u32 v16, vcc_lo, s6, v12
	s_wait_alu 0xfffd
	v_add_co_ci_u32_e32 v17, vcc_lo, s7, v13, vcc_lo
	s_clause 0x1
	global_load_b128 v[12:15], v[16:17], off offset:368
	global_load_b64 v[34:35], v[16:17], off offset:384
	ds_load_2addr_b64 v[16:19], v60 offset0:120 offset1:132
	ds_load_2addr_b64 v[20:23], v60 offset0:168 offset1:180
	ds_load_b64 v[36:37], v65
	v_mad_co_u64_u32 v[65:66], null, s2, v50, 0
	v_add_co_u32 v92, vcc_lo, s4, v24
	s_wait_alu 0xfffd
	v_add_co_ci_u32_e32 v93, vcc_lo, s5, v25, vcc_lo
	v_mad_co_u64_u32 v[24:25], null, s2, v49, 0
	v_mad_co_u64_u32 v[40:41], null, s2, v53, 0
	v_mov_b32_e32 v56, v66
	v_mad_u32_u24 v79, 0x90, v69, v47
	v_mov_b32_e32 v66, v68
	v_mad_u32_u24 v80, 0x90, v70, v48
	s_delay_alu instid0(VALU_DEP_3) | instskip(SKIP_1) | instid1(VALU_DEP_3)
	v_add_nc_u32_e32 v81, 48, v79
	v_mad_co_u64_u32 v[68:69], null, s3, v52, v[39:40]
	v_mad_co_u64_u32 v[69:70], null, s2, v80, 0
	;; [unrolled: 1-line block ×3, first 2 shown]
	v_add_nc_u32_e32 v88, 0x60, v80
	v_mad_co_u64_u32 v[71:72], null, s2, v81, 0
	v_dual_mov_b32 v39, v68 :: v_dual_add_nc_u32 v90, 0x90, v80
	s_delay_alu instid0(VALU_DEP_3) | instskip(SKIP_1) | instid1(VALU_DEP_3)
	v_mad_co_u64_u32 v[77:78], null, s2, v88, 0
	v_mov_b32_e32 v41, v52
	v_lshlrev_b64_e32 v[38:39], 3, v[38:39]
	s_delay_alu instid0(VALU_DEP_4) | instskip(NEXT) | instid1(VALU_DEP_3)
	v_mad_co_u64_u32 v[86:87], null, s2, v90, 0
	v_lshlrev_b64_e32 v[40:41], 3, v[40:41]
	s_wait_loadcnt 0x6
	v_mad_co_u64_u32 v[47:48], null, s3, v44, v[27:28]
	v_mad_co_u64_u32 v[43:44], null, s3, v45, v[43:44]
	v_mad_co_u64_u32 v[44:45], null, s3, v46, v[55:56]
	v_mad_co_u64_u32 v[48:49], null, s3, v49, v[25:26]
	v_mad_co_u64_u32 v[45:46], null, s3, v50, v[56:57]
	v_mad_co_u64_u32 v[49:50], null, s3, v51, v[66:67]
	v_mad_co_u64_u32 v[50:51], null, s2, v79, 0
	v_add_nc_u32_e32 v83, 0x90, v79
	v_dual_mov_b32 v25, v48 :: v_dual_add_nc_u32 v84, 48, v80
	v_dual_mov_b32 v27, v47 :: v_dual_add_nc_u32 v82, 0x60, v79
	v_mov_b32_e32 v66, v45
	s_delay_alu instid0(VALU_DEP_4) | instskip(NEXT) | instid1(VALU_DEP_4)
	v_mad_co_u64_u32 v[46:47], null, s2, v83, 0
	v_mad_co_u64_u32 v[75:76], null, s2, v84, 0
	v_dual_mov_b32 v55, v44 :: v_dual_mov_b32 v68, v49
	v_dual_mov_b32 v44, v51 :: v_dual_mov_b32 v45, v70
	v_mad_co_u64_u32 v[73:74], null, s2, v82, 0
	s_delay_alu instid0(VALU_DEP_3) | instskip(SKIP_1) | instid1(VALU_DEP_4)
	v_lshlrev_b64_e32 v[48:49], 3, v[54:55]
	v_lshlrev_b64_e32 v[51:52], 3, v[65:66]
	v_mad_co_u64_u32 v[55:56], null, s3, v79, v[44:45]
	v_mov_b32_e32 v44, v72
	v_mad_co_u64_u32 v[65:66], null, s3, v80, v[45:46]
	v_mov_b32_e32 v45, v76
	v_lshlrev_b64_e32 v[26:27], 3, v[26:27]
	v_lshlrev_b64_e32 v[24:25], 3, v[24:25]
	;; [unrolled: 1-line block ×3, first 2 shown]
	v_mov_b32_e32 v56, v74
	v_mad_co_u64_u32 v[66:67], null, s3, v81, v[44:45]
	v_mov_b32_e32 v44, v78
	v_mad_co_u64_u32 v[78:79], null, s3, v83, v[47:48]
	v_mad_co_u64_u32 v[79:80], null, s3, v84, v[45:46]
	v_add_co_u32 v80, vcc_lo, v92, v26
	s_wait_alu 0xfffd
	v_add_co_ci_u32_e32 v81, vcc_lo, v93, v27, vcc_lo
	v_mad_co_u64_u32 v[67:68], null, s3, v82, v[56:57]
	v_add_co_u32 v82, vcc_lo, v92, v24
	s_wait_alu 0xfffd
	v_add_co_ci_u32_e32 v83, vcc_lo, v93, v25, vcc_lo
	v_lshlrev_b64_e32 v[42:43], 3, v[42:43]
	v_add_co_u32 v38, vcc_lo, v92, v38
	s_wait_alu 0xfffd
	v_add_co_ci_u32_e32 v39, vcc_lo, v93, v39, vcc_lo
	v_add_co_u32 v40, vcc_lo, v92, v40
	s_wait_alu 0xfffd
	v_add_co_ci_u32_e32 v41, vcc_lo, v93, v41, vcc_lo
	;; [unrolled: 3-line block ×3, first 2 shown]
	v_add_co_u32 v48, vcc_lo, v92, v48
	v_mad_co_u64_u32 v[44:45], null, s3, v88, v[44:45]
	v_mov_b32_e32 v45, v87
	s_wait_alu 0xfffd
	v_add_co_ci_u32_e32 v49, vcc_lo, v93, v49, vcc_lo
	v_add_co_u32 v84, vcc_lo, v92, v51
	s_wait_alu 0xfffd
	v_add_co_ci_u32_e32 v85, vcc_lo, v93, v52, vcc_lo
	v_add_co_u32 v52, vcc_lo, v92, v53
	v_dual_mov_b32 v70, v65 :: v_dual_mov_b32 v47, v78
	v_mov_b32_e32 v72, v66
	v_mad_co_u64_u32 v[65:66], null, s3, v90, v[45:46]
	s_wait_alu 0xfffd
	v_add_co_ci_u32_e32 v53, vcc_lo, v93, v54, vcc_lo
	v_mov_b32_e32 v51, v55
	ds_load_b64 v[54:55], v64
	ds_load_b64 v[63:64], v63
	;; [unrolled: 1-line block ×3, first 2 shown]
	v_mov_b32_e32 v74, v67
	ds_load_2addr_b64 v[24:27], v60 offset0:144 offset1:156
	ds_load_b64 v[61:62], v61
	ds_load_2addr_b32 v[66:67], v60 offset0:216 offset1:217
	ds_load_b64 v[90:91], v60 offset:768
	v_lshlrev_b64_e32 v[50:51], 3, v[50:51]
	v_lshlrev_b64_e32 v[68:69], 3, v[69:70]
	v_dual_mov_b32 v78, v44 :: v_dual_mov_b32 v87, v65
	v_lshlrev_b64_e32 v[44:45], 3, v[71:72]
	s_wait_dscnt 0x7
	v_mul_f32_e32 v60, v1, v37
	v_add_co_u32 v50, vcc_lo, v92, v50
	v_mul_f32_e32 v65, v1, v36
	s_wait_alu 0xfffd
	v_add_co_ci_u32_e32 v51, vcc_lo, v93, v51, vcc_lo
	v_lshlrev_b64_e32 v[70:71], 3, v[73:74]
	v_add_co_u32 v68, vcc_lo, v92, v68
	s_wait_alu 0xfffd
	v_add_co_ci_u32_e32 v69, vcc_lo, v93, v69, vcc_lo
	v_lshlrev_b64_e32 v[46:47], 3, v[46:47]
	v_add_co_u32 v44, vcc_lo, v92, v44
	s_wait_dscnt 0x0
	v_mul_f32_e32 v56, v3, v90
	v_mul_f32_e32 v3, v3, v91
	v_mov_b32_e32 v76, v79
	s_wait_alu 0xfffd
	v_add_co_ci_u32_e32 v45, vcc_lo, v93, v45, vcc_lo
	v_add_co_u32 v70, vcc_lo, v92, v70
	v_dual_fmac_f32 v3, v2, v90 :: v_dual_fmac_f32 v60, v0, v36
	v_fma_f32 v0, v0, v37, -v65
	v_mul_f32_e32 v65, v29, v25
	v_fma_f32 v79, v2, v91, -v56
	s_delay_alu instid0(VALU_DEP_4)
	v_sub_f32_e32 v3, v61, v3
	ds_load_b64 v[1:2], v59
	ds_load_b64 v[58:59], v58
	ds_load_b64 v[56:57], v57
	v_lshlrev_b64_e32 v[72:73], 3, v[75:76]
	s_wait_alu 0xfffd
	v_add_co_ci_u32_e32 v71, vcc_lo, v93, v71, vcc_lo
	v_add_co_u32 v46, vcc_lo, v92, v46
	v_lshlrev_b64_e32 v[74:75], 3, v[77:78]
	v_mul_f32_e32 v29, v29, v24
	v_fmac_f32_e32 v65, v28, v24
	s_wait_alu 0xfffd
	v_add_co_ci_u32_e32 v47, vcc_lo, v93, v47, vcc_lo
	v_add_co_u32 v72, vcc_lo, v92, v72
	v_lshlrev_b64_e32 v[76:77], 3, v[86:87]
	s_wait_alu 0xfffd
	v_add_co_ci_u32_e32 v73, vcc_lo, v93, v73, vcc_lo
	v_add_co_u32 v36, vcc_lo, v92, v74
	v_sub_f32_e32 v74, v62, v79
	v_fma_f32 v28, v28, v25, -v29
	v_sub_f32_e32 v65, v60, v65
	s_wait_alu 0xfffd
	v_add_co_ci_u32_e32 v37, vcc_lo, v93, v75, vcc_lo
	v_add_co_u32 v24, vcc_lo, v92, v76
	s_wait_loadcnt 0x5
	v_mul_f32_e32 v76, v7, v18
	s_wait_alu 0xfffd
	v_add_co_ci_u32_e32 v25, vcc_lo, v93, v77, vcc_lo
	s_wait_loadcnt 0x4
	v_dual_sub_f32 v75, v0, v28 :: v_dual_mul_f32 v78, v31, v23
	s_wait_dscnt 0x2
	v_mul_f32_e32 v77, v5, v2
	v_dual_mul_f32 v18, v6, v18 :: v_dual_mul_f32 v5, v1, v5
	v_fma_f32 v61, v61, 2.0, -v3
	v_fma_f32 v60, v60, 2.0, -v65
	v_mul_f32_e32 v31, v22, v31
	s_delay_alu instid0(VALU_DEP_4)
	v_dual_sub_f32 v29, v74, v65 :: v_dual_fmac_f32 v18, v19, v7
	v_add_f32_e32 v28, v3, v75
	v_fma_f32 v75, v0, 2.0, -v75
	v_fma_f32 v62, v62, 2.0, -v74
	v_fma_f32 v6, v6, v19, -v76
	v_dual_fmac_f32 v77, v4, v1 :: v_dual_fmac_f32 v78, v30, v22
	v_fma_f32 v19, v4, v2, -v5
	s_wait_loadcnt_dscnt 0x301
	v_dual_mul_f32 v5, v11, v16 :: v_dual_mul_f32 v22, v9, v59
	v_mul_f32_e32 v16, v10, v16
	v_mul_f32_e32 v7, v58, v9
	s_wait_loadcnt 0x2
	v_dual_mul_f32 v9, v20, v33 :: v_dual_sub_f32 v18, v54, v18
	v_sub_f32_e32 v2, v61, v60
	v_fma_f32 v4, v30, v23, -v31
	v_mul_f32_e32 v23, v33, v21
	v_fma_f32 v0, v3, 2.0, -v28
	v_dual_sub_f32 v3, v62, v75 :: v_dual_fmac_f32 v22, v8, v58
	v_sub_f32_e32 v30, v55, v6
	v_sub_f32_e32 v31, v77, v78
	v_dual_sub_f32 v33, v19, v4 :: v_dual_fmac_f32 v16, v17, v11
	v_fma_f32 v10, v10, v17, -v5
	v_fmac_f32_e32 v23, v32, v20
	v_fma_f32 v8, v8, v59, -v7
	v_fma_f32 v9, v32, v21, -v9
	s_wait_loadcnt 0x0
	v_dual_mul_f32 v32, v26, v35 :: v_dual_mul_f32 v11, v15, v66
	v_add_f32_e32 v6, v18, v33
	s_wait_dscnt 0x0
	v_dual_mul_f32 v17, v13, v57 :: v_dual_sub_f32 v10, v64, v10
	v_dual_mul_f32 v20, v35, v27 :: v_dual_mul_f32 v21, v14, v66
	v_mul_f32_e32 v13, v13, v56
	v_fma_f32 v5, v62, 2.0, -v3
	v_fma_f32 v4, v61, 2.0, -v2
	s_delay_alu instid0(VALU_DEP_4)
	v_fmac_f32_e32 v20, v34, v26
	v_fma_f32 v35, v55, 2.0, -v30
	v_fma_f32 v19, v19, 2.0, -v33
	;; [unrolled: 1-line block ×3, first 2 shown]
	v_sub_f32_e32 v54, v63, v16
	v_fma_f32 v11, v14, v67, -v11
	v_fmac_f32_e32 v17, v12, v56
	v_fmac_f32_e32 v21, v67, v15
	v_sub_f32_e32 v23, v22, v23
	v_fma_f32 v12, v12, v57, -v13
	v_fma_f32 v13, v34, v27, -v32
	v_sub_f32_e32 v7, v30, v31
	v_fma_f32 v31, v77, 2.0, -v31
	v_sub_f32_e32 v9, v8, v9
	v_fma_f32 v1, v74, 2.0, -v29
	s_clause 0x3
	global_store_b64 v[80:81], v[4:5], off
	global_store_b64 v[82:83], v[0:1], off
	;; [unrolled: 1-line block ×4, first 2 shown]
	v_sub_f32_e32 v2, v33, v31
	v_fma_f32 v0, v18, 2.0, -v6
	v_dual_sub_f32 v3, v35, v19 :: v_dual_add_f32 v4, v54, v9
	v_fma_f32 v27, v63, 2.0, -v54
	v_fma_f32 v18, v22, 2.0, -v23
	v_sub_f32_e32 v19, v89, v11
	v_dual_sub_f32 v15, v17, v20 :: v_dual_sub_f32 v20, v12, v13
	v_sub_f32_e32 v22, v88, v21
	v_fma_f32 v26, v64, 2.0, -v10
	s_delay_alu instid0(VALU_DEP_4) | instskip(NEXT) | instid1(VALU_DEP_4)
	v_fma_f32 v21, v89, 2.0, -v19
	v_fma_f32 v16, v17, 2.0, -v15
	v_sub_f32_e32 v5, v10, v23
	v_fma_f32 v12, v12, 2.0, -v20
	v_fma_f32 v23, v88, 2.0, -v22
	;; [unrolled: 1-line block ×5, first 2 shown]
	v_sub_f32_e32 v17, v21, v12
	s_delay_alu instid0(VALU_DEP_4)
	v_dual_sub_f32 v16, v23, v16 :: v_dual_sub_f32 v13, v26, v14
	v_add_f32_e32 v14, v22, v20
	v_sub_f32_e32 v12, v27, v18
	v_sub_f32_e32 v15, v19, v15
	v_fma_f32 v21, v21, 2.0, -v17
	v_fma_f32 v20, v23, 2.0, -v16
	;; [unrolled: 1-line block ×9, first 2 shown]
	s_clause 0xb
	global_store_b64 v[42:43], v[20:21], off
	global_store_b64 v[48:49], v[18:19], off
	global_store_b64 v[84:85], v[16:17], off
	global_store_b64 v[52:53], v[14:15], off
	global_store_b64 v[50:51], v[22:23], off
	global_store_b64 v[44:45], v[10:11], off
	global_store_b64 v[70:71], v[12:13], off
	global_store_b64 v[46:47], v[4:5], off
	global_store_b64 v[68:69], v[8:9], off
	global_store_b64 v[72:73], v[0:1], off
	global_store_b64 v[36:37], v[2:3], off
	global_store_b64 v[24:25], v[6:7], off
.LBB0_14:
	s_nop 0
	s_sendmsg sendmsg(MSG_DEALLOC_VGPRS)
	s_endpgm
	.section	.rodata,"a",@progbits
	.p2align	6, 0x0
	.amdhsa_kernel fft_rtc_back_len192_factors_2_2_3_4_4_wgs_192_tpt_12_dim3_sp_ip_CI_sbrr_dirReg
		.amdhsa_group_segment_fixed_size 0
		.amdhsa_private_segment_fixed_size 0
		.amdhsa_kernarg_size 80
		.amdhsa_user_sgpr_count 2
		.amdhsa_user_sgpr_dispatch_ptr 0
		.amdhsa_user_sgpr_queue_ptr 0
		.amdhsa_user_sgpr_kernarg_segment_ptr 1
		.amdhsa_user_sgpr_dispatch_id 0
		.amdhsa_user_sgpr_private_segment_size 0
		.amdhsa_wavefront_size32 1
		.amdhsa_uses_dynamic_stack 0
		.amdhsa_enable_private_segment 0
		.amdhsa_system_sgpr_workgroup_id_x 1
		.amdhsa_system_sgpr_workgroup_id_y 0
		.amdhsa_system_sgpr_workgroup_id_z 0
		.amdhsa_system_sgpr_workgroup_info 0
		.amdhsa_system_vgpr_workitem_id 0
		.amdhsa_next_free_vgpr 94
		.amdhsa_next_free_sgpr 16
		.amdhsa_reserve_vcc 1
		.amdhsa_float_round_mode_32 0
		.amdhsa_float_round_mode_16_64 0
		.amdhsa_float_denorm_mode_32 3
		.amdhsa_float_denorm_mode_16_64 3
		.amdhsa_fp16_overflow 0
		.amdhsa_workgroup_processor_mode 1
		.amdhsa_memory_ordered 1
		.amdhsa_forward_progress 0
		.amdhsa_round_robin_scheduling 0
		.amdhsa_exception_fp_ieee_invalid_op 0
		.amdhsa_exception_fp_denorm_src 0
		.amdhsa_exception_fp_ieee_div_zero 0
		.amdhsa_exception_fp_ieee_overflow 0
		.amdhsa_exception_fp_ieee_underflow 0
		.amdhsa_exception_fp_ieee_inexact 0
		.amdhsa_exception_int_div_zero 0
	.end_amdhsa_kernel
	.text
.Lfunc_end0:
	.size	fft_rtc_back_len192_factors_2_2_3_4_4_wgs_192_tpt_12_dim3_sp_ip_CI_sbrr_dirReg, .Lfunc_end0-fft_rtc_back_len192_factors_2_2_3_4_4_wgs_192_tpt_12_dim3_sp_ip_CI_sbrr_dirReg
                                        ; -- End function
	.section	.AMDGPU.csdata,"",@progbits
; Kernel info:
; codeLenInByte = 7708
; NumSgprs: 18
; NumVgprs: 94
; ScratchSize: 0
; MemoryBound: 0
; FloatMode: 240
; IeeeMode: 1
; LDSByteSize: 0 bytes/workgroup (compile time only)
; SGPRBlocks: 2
; VGPRBlocks: 11
; NumSGPRsForWavesPerEU: 18
; NumVGPRsForWavesPerEU: 94
; Occupancy: 15
; WaveLimiterHint : 1
; COMPUTE_PGM_RSRC2:SCRATCH_EN: 0
; COMPUTE_PGM_RSRC2:USER_SGPR: 2
; COMPUTE_PGM_RSRC2:TRAP_HANDLER: 0
; COMPUTE_PGM_RSRC2:TGID_X_EN: 1
; COMPUTE_PGM_RSRC2:TGID_Y_EN: 0
; COMPUTE_PGM_RSRC2:TGID_Z_EN: 0
; COMPUTE_PGM_RSRC2:TIDIG_COMP_CNT: 0
	.text
	.p2alignl 7, 3214868480
	.fill 96, 4, 3214868480
	.type	__hip_cuid_2608a0454ae3832d,@object ; @__hip_cuid_2608a0454ae3832d
	.section	.bss,"aw",@nobits
	.globl	__hip_cuid_2608a0454ae3832d
__hip_cuid_2608a0454ae3832d:
	.byte	0                               ; 0x0
	.size	__hip_cuid_2608a0454ae3832d, 1

	.ident	"AMD clang version 19.0.0git (https://github.com/RadeonOpenCompute/llvm-project roc-6.4.0 25133 c7fe45cf4b819c5991fe208aaa96edf142730f1d)"
	.section	".note.GNU-stack","",@progbits
	.addrsig
	.addrsig_sym __hip_cuid_2608a0454ae3832d
	.amdgpu_metadata
---
amdhsa.kernels:
  - .args:
      - .actual_access:  read_only
        .address_space:  global
        .offset:         0
        .size:           8
        .value_kind:     global_buffer
      - .actual_access:  read_only
        .address_space:  global
        .offset:         8
        .size:           8
        .value_kind:     global_buffer
      - .actual_access:  read_only
        .address_space:  global
        .offset:         16
        .size:           8
        .value_kind:     global_buffer
      - .offset:         24
        .size:           8
        .value_kind:     by_value
      - .actual_access:  read_only
        .address_space:  global
        .offset:         32
        .size:           8
        .value_kind:     global_buffer
      - .actual_access:  read_only
        .address_space:  global
        .offset:         40
        .size:           8
        .value_kind:     global_buffer
      - .offset:         48
        .size:           4
        .value_kind:     by_value
      - .actual_access:  read_only
        .address_space:  global
        .offset:         56
        .size:           8
        .value_kind:     global_buffer
      - .actual_access:  read_only
        .address_space:  global
        .offset:         64
        .size:           8
        .value_kind:     global_buffer
      - .address_space:  global
        .offset:         72
        .size:           8
        .value_kind:     global_buffer
    .group_segment_fixed_size: 0
    .kernarg_segment_align: 8
    .kernarg_segment_size: 80
    .language:       OpenCL C
    .language_version:
      - 2
      - 0
    .max_flat_workgroup_size: 192
    .name:           fft_rtc_back_len192_factors_2_2_3_4_4_wgs_192_tpt_12_dim3_sp_ip_CI_sbrr_dirReg
    .private_segment_fixed_size: 0
    .sgpr_count:     18
    .sgpr_spill_count: 0
    .symbol:         fft_rtc_back_len192_factors_2_2_3_4_4_wgs_192_tpt_12_dim3_sp_ip_CI_sbrr_dirReg.kd
    .uniform_work_group_size: 1
    .uses_dynamic_stack: false
    .vgpr_count:     94
    .vgpr_spill_count: 0
    .wavefront_size: 32
    .workgroup_processor_mode: 1
amdhsa.target:   amdgcn-amd-amdhsa--gfx1201
amdhsa.version:
  - 1
  - 2
...

	.end_amdgpu_metadata
